;; amdgpu-corpus repo=zjin-lcf/HeCBench kind=compiled arch=gfx90a opt=O3
	.text
	.amdgcn_target "amdgcn-amd-amdhsa--gfx90a"
	.amdhsa_code_object_version 6
	.section	.text._Z27rmsnorm_fwd_two_scan_kernelIfLi4EEvPKT_S2_PS0_lf,"axG",@progbits,_Z27rmsnorm_fwd_two_scan_kernelIfLi4EEvPKT_S2_PS0_lf,comdat
	.protected	_Z27rmsnorm_fwd_two_scan_kernelIfLi4EEvPKT_S2_PS0_lf ; -- Begin function _Z27rmsnorm_fwd_two_scan_kernelIfLi4EEvPKT_S2_PS0_lf
	.globl	_Z27rmsnorm_fwd_two_scan_kernelIfLi4EEvPKT_S2_PS0_lf
	.p2align	8
	.type	_Z27rmsnorm_fwd_two_scan_kernelIfLi4EEvPKT_S2_PS0_lf,@function
_Z27rmsnorm_fwd_two_scan_kernelIfLi4EEvPKT_S2_PS0_lf: ; @_Z27rmsnorm_fwd_two_scan_kernelIfLi4EEvPKT_S2_PS0_lf
; %bb.0:
	s_load_dword s0, s[4:5], 0x34
	s_load_dwordx8 s[8:15], s[4:5], 0x0
	s_ashr_i32 s1, s6, 31
	v_lshlrev_b32_e32 v2, 2, v0
	v_mov_b32_e32 v3, 0
	s_waitcnt lgkmcnt(0)
	s_and_b32 s20, s0, 0xffff
	s_mul_i32 s0, s6, s15
	s_mul_hi_u32 s2, s6, s14
	s_add_i32 s0, s2, s0
	s_mul_i32 s1, s1, s14
	s_add_i32 s7, s0, s1
	s_mul_i32 s6, s6, s14
	v_cmp_gt_i64_e32 vcc, s[14:15], v[2:3]
	v_lshlrev_b32_e32 v4, 4, v0
	v_mov_b32_e32 v5, v3
	s_and_saveexec_b64 s[2:3], vcc
	s_cbranch_execz .LBB0_4
; %bb.1:
	s_lshl_b32 s18, s20, 2
	s_lshl_b64 s[0:1], s[6:7], 2
	s_add_u32 s0, s8, s0
	s_addc_u32 s1, s9, s1
	v_mov_b32_e32 v1, s1
	v_add_co_u32_e64 v5, s[0:1], s0, v4
	v_addc_co_u32_e64 v1, s[0:1], 0, v1, s[0:1]
	s_mov_b32 s21, 0
	v_add_co_u32_e64 v6, s[0:1], 8, v5
	v_addc_co_u32_e64 v7, s[0:1], 0, v1, s[0:1]
	s_lshl_b32 s19, s20, 4
	s_mov_b64 s[16:17], 0
	v_mov_b32_e32 v5, 0
	v_mov_b32_e32 v1, s21
	;; [unrolled: 1-line block ×3, first 2 shown]
	v_pk_mov_b32 v[8:9], v[2:3], v[2:3] op_sel:[0,1]
.LBB0_2:                                ; =>This Inner Loop Header: Depth=1
	global_load_dwordx4 v[12:15], v[6:7], off offset:-8
	v_add_co_u32_e64 v8, s[0:1], s18, v8
	v_addc_co_u32_e64 v9, s[0:1], v9, v1, s[0:1]
	v_add_co_u32_e64 v6, s[0:1], s19, v6
	v_addc_co_u32_e64 v7, s[0:1], v7, v10, s[0:1]
	v_cmp_le_i64_e64 s[0:1], s[14:15], v[8:9]
	s_or_b64 s[16:17], s[0:1], s[16:17]
	s_waitcnt vmcnt(0)
	v_fmac_f32_e32 v5, v12, v12
	v_fmac_f32_e32 v5, v13, v13
	;; [unrolled: 1-line block ×4, first 2 shown]
	s_andn2_b64 exec, exec, s[16:17]
	s_cbranch_execnz .LBB0_2
; %bb.3:
	s_or_b64 exec, exec, s[16:17]
.LBB0_4:
	s_or_b64 exec, exec, s[2:3]
	v_mbcnt_lo_u32_b32 v1, -1, 0
	v_mbcnt_hi_u32_b32 v9, -1, v1
	v_and_b32_e32 v1, 64, v9
	v_add_u32_e32 v10, 64, v1
	v_xor_b32_e32 v1, 32, v9
	v_cmp_lt_i32_e64 s[0:1], v1, v10
	v_cndmask_b32_e64 v1, v9, v1, s[0:1]
	v_lshlrev_b32_e32 v1, 2, v1
	ds_bpermute_b32 v6, v1, v5
	v_xor_b32_e32 v7, 16, v9
	v_cmp_lt_i32_e64 s[0:1], v7, v10
	v_xor_b32_e32 v8, 8, v9
	v_xor_b32_e32 v11, 4, v9
	s_waitcnt lgkmcnt(0)
	v_add_f32_e32 v6, v5, v6
	v_cndmask_b32_e64 v5, v9, v7, s[0:1]
	v_lshlrev_b32_e32 v5, 2, v5
	ds_bpermute_b32 v7, v5, v6
	v_cmp_lt_i32_e64 s[0:1], v8, v10
	v_xor_b32_e32 v12, 2, v9
	v_xor_b32_e32 v13, 1, v9
	s_waitcnt lgkmcnt(0)
	v_add_f32_e32 v7, v6, v7
	v_cndmask_b32_e64 v6, v9, v8, s[0:1]
	v_lshlrev_b32_e32 v6, 2, v6
	ds_bpermute_b32 v8, v6, v7
	v_cmp_lt_i32_e64 s[0:1], v11, v10
	s_waitcnt lgkmcnt(0)
	v_add_f32_e32 v8, v7, v8
	v_cndmask_b32_e64 v7, v9, v11, s[0:1]
	v_lshlrev_b32_e32 v7, 2, v7
	ds_bpermute_b32 v11, v7, v8
	v_cmp_lt_i32_e64 s[0:1], v12, v10
	;; [unrolled: 6-line block ×3, first 2 shown]
	v_cndmask_b32_e64 v9, v9, v13, s[0:1]
	v_lshlrev_b32_e32 v9, 2, v9
	v_and_b32_e32 v10, 63, v0
	s_waitcnt lgkmcnt(0)
	v_add_f32_e32 v11, v11, v12
	ds_bpermute_b32 v12, v9, v11
	v_cmp_eq_u32_e64 s[0:1], 0, v10
	s_and_saveexec_b64 s[2:3], s[0:1]
	s_cbranch_execz .LBB0_6
; %bb.5:
	s_waitcnt lgkmcnt(0)
	v_add_f32_e32 v11, v11, v12
	v_lshrrev_b32_e32 v12, 4, v0
	ds_write_b32 v12, v11
.LBB0_6:
	s_or_b64 exec, exec, s[2:3]
	v_cmp_gt_u32_e64 s[2:3], 64, v0
	s_waitcnt lgkmcnt(0)
	s_barrier
	s_and_saveexec_b64 s[16:17], s[2:3]
	s_cbranch_execz .LBB0_11
; %bb.7:
	s_add_i32 s2, s20, 63
	s_lshr_b32 s2, s2, 6
	v_cmp_gt_u32_e64 s[2:3], s2, v10
	v_mov_b32_e32 v0, 0
	s_and_saveexec_b64 s[18:19], s[2:3]
	s_cbranch_execz .LBB0_9
; %bb.8:
	v_lshlrev_b32_e32 v0, 2, v10
	ds_read_b32 v0, v0
.LBB0_9:
	s_or_b64 exec, exec, s[18:19]
	s_waitcnt lgkmcnt(0)
	ds_bpermute_b32 v1, v1, v0
	s_waitcnt lgkmcnt(0)
	v_add_f32_e32 v0, v0, v1
	ds_bpermute_b32 v1, v5, v0
	s_waitcnt lgkmcnt(0)
	v_add_f32_e32 v0, v0, v1
	;; [unrolled: 3-line block ×5, first 2 shown]
	ds_bpermute_b32 v1, v9, v0
	s_and_b64 exec, exec, s[0:1]
	s_cbranch_execz .LBB0_11
; %bb.10:
	s_waitcnt lgkmcnt(0)
	v_add_f32_e32 v0, v0, v1
	v_mov_b32_e32 v1, 0
	ds_write_b32 v1, v0
.LBB0_11:
	s_or_b64 exec, exec, s[16:17]
	s_waitcnt lgkmcnt(0)
	s_barrier
	s_and_saveexec_b64 s[0:1], vcc
	s_cbranch_execz .LBB0_14
; %bb.12:
	s_lshl_b64 s[0:1], s[6:7], 2
	s_add_u32 s2, s8, s0
	s_addc_u32 s8, s9, s1
	s_xor_b32 s6, s14, s15
	s_flbit_i32 s3, s15
	s_ashr_i32 s6, s6, 31
	s_add_i32 s3, s3, -1
	s_add_i32 s6, s6, 32
	s_min_u32 s3, s3, s6
	s_lshl_b64 s[6:7], s[14:15], s3
	s_min_u32 s6, s6, 1
	v_mov_b32_e32 v1, 0
	s_or_b32 s6, s7, s6
	v_cvt_f32_i32_e32 v0, s6
	ds_read_b32 v5, v1
	s_sub_i32 s3, 32, s3
	v_ldexp_f32 v0, v0, s3
	s_load_dword s3, s[4:5], 0x20
	s_waitcnt lgkmcnt(0)
	v_div_scale_f32 v6, s[6:7], v0, v0, v5
	v_rcp_f32_e32 v7, v6
	s_lshl_b32 s4, s20, 4
	s_mov_b32 s7, 0
	s_mov_b32 s9, s7
	v_fma_f32 v8, -v6, v7, 1.0
	v_fmac_f32_e32 v7, v8, v7
	v_div_scale_f32 v8, vcc, v5, v0, v5
	v_mul_f32_e32 v9, v8, v7
	v_fma_f32 v10, -v6, v9, v8
	v_fmac_f32_e32 v9, v10, v7
	v_fma_f32 v6, -v6, v9, v8
	v_div_fmas_f32 v6, v6, v7, v9
	v_div_fixup_f32 v0, v6, v0, v5
	v_add_f32_e32 v0, s3, v0
	s_mov_b32 s3, 0x800000
	v_mul_f32_e32 v5, 0x4b800000, v0
	v_cmp_gt_f32_e32 vcc, s3, v0
	v_cndmask_b32_e32 v0, v0, v5, vcc
	s_lshl_b32 s3, s20, 2
	v_rsq_f32_e32 v0, v0
	s_add_u32 s0, s0, s12
	s_addc_u32 s1, s1, s13
	s_add_u32 s5, s0, 8
	s_addc_u32 s12, s1, 0
	v_mul_f32_e32 v5, 0x45800000, v0
	s_add_u32 s6, s10, 8
	v_cndmask_b32_e32 v6, v0, v5, vcc
	s_addc_u32 s10, s11, 0
	v_mov_b32_e32 v7, v6
	s_mov_b64 s[0:1], 0
	v_mov_b32_e32 v0, s8
	v_mov_b32_e32 v5, s10
	;; [unrolled: 1-line block ×5, first 2 shown]
.LBB0_13:                               ; =>This Inner Loop Header: Depth=1
	v_add_co_u32_e32 v20, vcc, s2, v4
	v_addc_co_u32_e32 v21, vcc, v0, v1, vcc
	v_add_co_u32_e32 v22, vcc, s6, v4
	v_addc_co_u32_e32 v23, vcc, v5, v1, vcc
	global_load_dwordx4 v[12:15], v[20:21], off
	global_load_dwordx4 v[16:19], v[22:23], off offset:-8
	v_add_co_u32_e32 v20, vcc, s5, v4
	v_addc_co_u32_e32 v21, vcc, v8, v1, vcc
	v_add_co_u32_e32 v2, vcc, s3, v2
	v_addc_co_u32_e32 v3, vcc, v3, v9, vcc
	;; [unrolled: 2-line block ×3, first 2 shown]
	v_cmp_le_i64_e32 vcc, s[14:15], v[2:3]
	s_or_b64 s[0:1], vcc, s[0:1]
	s_waitcnt vmcnt(1)
	v_pk_mul_f32 v[12:13], v[6:7], v[12:13]
	v_pk_mul_f32 v[14:15], v[6:7], v[14:15]
	s_waitcnt vmcnt(0)
	v_pk_mul_f32 v[12:13], v[12:13], v[16:17]
	v_pk_mul_f32 v[14:15], v[14:15], v[18:19]
	global_store_dwordx4 v[20:21], v[12:15], off offset:-8
	s_andn2_b64 exec, exec, s[0:1]
	s_cbranch_execnz .LBB0_13
.LBB0_14:
	s_endpgm
	.section	.rodata,"a",@progbits
	.p2align	6, 0x0
	.amdhsa_kernel _Z27rmsnorm_fwd_two_scan_kernelIfLi4EEvPKT_S2_PS0_lf
		.amdhsa_group_segment_fixed_size 64
		.amdhsa_private_segment_fixed_size 0
		.amdhsa_kernarg_size 296
		.amdhsa_user_sgpr_count 6
		.amdhsa_user_sgpr_private_segment_buffer 1
		.amdhsa_user_sgpr_dispatch_ptr 0
		.amdhsa_user_sgpr_queue_ptr 0
		.amdhsa_user_sgpr_kernarg_segment_ptr 1
		.amdhsa_user_sgpr_dispatch_id 0
		.amdhsa_user_sgpr_flat_scratch_init 0
		.amdhsa_user_sgpr_kernarg_preload_length 0
		.amdhsa_user_sgpr_kernarg_preload_offset 0
		.amdhsa_user_sgpr_private_segment_size 0
		.amdhsa_uses_dynamic_stack 0
		.amdhsa_system_sgpr_private_segment_wavefront_offset 0
		.amdhsa_system_sgpr_workgroup_id_x 1
		.amdhsa_system_sgpr_workgroup_id_y 0
		.amdhsa_system_sgpr_workgroup_id_z 0
		.amdhsa_system_sgpr_workgroup_info 0
		.amdhsa_system_vgpr_workitem_id 0
		.amdhsa_next_free_vgpr 24
		.amdhsa_next_free_sgpr 22
		.amdhsa_accum_offset 24
		.amdhsa_reserve_vcc 1
		.amdhsa_reserve_flat_scratch 0
		.amdhsa_float_round_mode_32 0
		.amdhsa_float_round_mode_16_64 0
		.amdhsa_float_denorm_mode_32 3
		.amdhsa_float_denorm_mode_16_64 3
		.amdhsa_dx10_clamp 1
		.amdhsa_ieee_mode 1
		.amdhsa_fp16_overflow 0
		.amdhsa_tg_split 0
		.amdhsa_exception_fp_ieee_invalid_op 0
		.amdhsa_exception_fp_denorm_src 0
		.amdhsa_exception_fp_ieee_div_zero 0
		.amdhsa_exception_fp_ieee_overflow 0
		.amdhsa_exception_fp_ieee_underflow 0
		.amdhsa_exception_fp_ieee_inexact 0
		.amdhsa_exception_int_div_zero 0
	.end_amdhsa_kernel
	.section	.text._Z27rmsnorm_fwd_two_scan_kernelIfLi4EEvPKT_S2_PS0_lf,"axG",@progbits,_Z27rmsnorm_fwd_two_scan_kernelIfLi4EEvPKT_S2_PS0_lf,comdat
.Lfunc_end0:
	.size	_Z27rmsnorm_fwd_two_scan_kernelIfLi4EEvPKT_S2_PS0_lf, .Lfunc_end0-_Z27rmsnorm_fwd_two_scan_kernelIfLi4EEvPKT_S2_PS0_lf
                                        ; -- End function
	.section	.AMDGPU.csdata,"",@progbits
; Kernel info:
; codeLenInByte = 1160
; NumSgprs: 26
; NumVgprs: 24
; NumAgprs: 0
; TotalNumVgprs: 24
; ScratchSize: 0
; MemoryBound: 0
; FloatMode: 240
; IeeeMode: 1
; LDSByteSize: 64 bytes/workgroup (compile time only)
; SGPRBlocks: 3
; VGPRBlocks: 2
; NumSGPRsForWavesPerEU: 26
; NumVGPRsForWavesPerEU: 24
; AccumOffset: 24
; Occupancy: 8
; WaveLimiterHint : 0
; COMPUTE_PGM_RSRC2:SCRATCH_EN: 0
; COMPUTE_PGM_RSRC2:USER_SGPR: 6
; COMPUTE_PGM_RSRC2:TRAP_HANDLER: 0
; COMPUTE_PGM_RSRC2:TGID_X_EN: 1
; COMPUTE_PGM_RSRC2:TGID_Y_EN: 0
; COMPUTE_PGM_RSRC2:TGID_Z_EN: 0
; COMPUTE_PGM_RSRC2:TIDIG_COMP_CNT: 0
; COMPUTE_PGM_RSRC3_GFX90A:ACCUM_OFFSET: 5
; COMPUTE_PGM_RSRC3_GFX90A:TG_SPLIT: 0
	.section	.text._Z27rmsnorm_fwd_two_scan_kernelIfLi1EEvPKT_S2_PS0_lf,"axG",@progbits,_Z27rmsnorm_fwd_two_scan_kernelIfLi1EEvPKT_S2_PS0_lf,comdat
	.protected	_Z27rmsnorm_fwd_two_scan_kernelIfLi1EEvPKT_S2_PS0_lf ; -- Begin function _Z27rmsnorm_fwd_two_scan_kernelIfLi1EEvPKT_S2_PS0_lf
	.globl	_Z27rmsnorm_fwd_two_scan_kernelIfLi1EEvPKT_S2_PS0_lf
	.p2align	8
	.type	_Z27rmsnorm_fwd_two_scan_kernelIfLi1EEvPKT_S2_PS0_lf,@function
_Z27rmsnorm_fwd_two_scan_kernelIfLi1EEvPKT_S2_PS0_lf: ; @_Z27rmsnorm_fwd_two_scan_kernelIfLi1EEvPKT_S2_PS0_lf
; %bb.0:
	s_load_dword s0, s[4:5], 0x34
	s_load_dwordx8 s[8:15], s[4:5], 0x0
	s_ashr_i32 s1, s6, 31
	v_mov_b32_e32 v1, 0
	v_mov_b32_e32 v6, v1
	s_waitcnt lgkmcnt(0)
	s_and_b32 s20, s0, 0xffff
	s_mul_i32 s0, s6, s15
	s_mul_hi_u32 s2, s6, s14
	s_add_i32 s0, s2, s0
	s_mul_i32 s1, s1, s14
	s_add_i32 s7, s0, s1
	s_mul_i32 s6, s6, s14
	v_cmp_gt_i64_e32 vcc, s[14:15], v[0:1]
	s_and_saveexec_b64 s[2:3], vcc
	s_cbranch_execz .LBB1_4
; %bb.1:
	s_lshl_b64 s[0:1], s[6:7], 2
	s_add_u32 s0, s8, s0
	v_lshlrev_b32_e32 v2, 2, v0
	s_addc_u32 s1, s9, s1
	s_mov_b32 s19, 0
	v_mov_b32_e32 v3, s1
	v_add_co_u32_e64 v2, s[0:1], s0, v2
	v_addc_co_u32_e64 v3, s[0:1], 0, v3, s[0:1]
	s_lshl_b32 s18, s20, 2
	s_mov_b64 s[16:17], 0
	v_mov_b32_e32 v6, 0
	v_mov_b32_e32 v7, s19
	;; [unrolled: 1-line block ×3, first 2 shown]
	v_pk_mov_b32 v[4:5], v[0:1], v[0:1] op_sel:[0,1]
.LBB1_2:                                ; =>This Inner Loop Header: Depth=1
	global_load_dword v9, v[2:3], off
	v_add_co_u32_e64 v4, s[0:1], s20, v4
	v_addc_co_u32_e64 v5, s[0:1], v5, v7, s[0:1]
	v_add_co_u32_e64 v2, s[0:1], s18, v2
	v_addc_co_u32_e64 v3, s[0:1], v3, v8, s[0:1]
	v_cmp_le_i64_e64 s[0:1], s[14:15], v[4:5]
	s_or_b64 s[16:17], s[0:1], s[16:17]
	s_waitcnt vmcnt(0)
	v_fmac_f32_e32 v6, v9, v9
	s_andn2_b64 exec, exec, s[16:17]
	s_cbranch_execnz .LBB1_2
; %bb.3:
	s_or_b64 exec, exec, s[16:17]
.LBB1_4:
	s_or_b64 exec, exec, s[2:3]
	v_mbcnt_lo_u32_b32 v2, -1, 0
	v_mbcnt_hi_u32_b32 v7, -1, v2
	v_and_b32_e32 v2, 64, v7
	v_add_u32_e32 v8, 64, v2
	v_xor_b32_e32 v2, 32, v7
	v_cmp_lt_i32_e64 s[0:1], v2, v8
	v_cndmask_b32_e64 v2, v7, v2, s[0:1]
	v_lshlrev_b32_e32 v2, 2, v2
	ds_bpermute_b32 v3, v2, v6
	v_xor_b32_e32 v4, 16, v7
	v_cmp_lt_i32_e64 s[0:1], v4, v8
	v_xor_b32_e32 v9, 4, v7
	v_xor_b32_e32 v10, 2, v7
	s_waitcnt lgkmcnt(0)
	v_add_f32_e32 v5, v6, v3
	v_cndmask_b32_e64 v3, v7, v4, s[0:1]
	v_lshlrev_b32_e32 v3, 2, v3
	ds_bpermute_b32 v4, v3, v5
	v_xor_b32_e32 v6, 8, v7
	v_cmp_lt_i32_e64 s[0:1], v6, v8
	v_xor_b32_e32 v11, 1, v7
	s_waitcnt lgkmcnt(0)
	v_add_f32_e32 v5, v5, v4
	v_cndmask_b32_e64 v4, v7, v6, s[0:1]
	v_lshlrev_b32_e32 v4, 2, v4
	ds_bpermute_b32 v6, v4, v5
	v_cmp_lt_i32_e64 s[0:1], v9, v8
	s_waitcnt lgkmcnt(0)
	v_add_f32_e32 v6, v5, v6
	v_cndmask_b32_e64 v5, v7, v9, s[0:1]
	v_lshlrev_b32_e32 v5, 2, v5
	ds_bpermute_b32 v9, v5, v6
	v_cmp_lt_i32_e64 s[0:1], v10, v8
	s_waitcnt lgkmcnt(0)
	v_add_f32_e32 v9, v6, v9
	v_cndmask_b32_e64 v6, v7, v10, s[0:1]
	v_lshlrev_b32_e32 v6, 2, v6
	ds_bpermute_b32 v10, v6, v9
	v_cmp_lt_i32_e64 s[0:1], v11, v8
	v_cndmask_b32_e64 v7, v7, v11, s[0:1]
	v_lshlrev_b32_e32 v7, 2, v7
	v_and_b32_e32 v8, 63, v0
	s_waitcnt lgkmcnt(0)
	v_add_f32_e32 v9, v9, v10
	ds_bpermute_b32 v10, v7, v9
	v_cmp_eq_u32_e64 s[0:1], 0, v8
	s_and_saveexec_b64 s[2:3], s[0:1]
	s_cbranch_execz .LBB1_6
; %bb.5:
	s_waitcnt lgkmcnt(0)
	v_add_f32_e32 v9, v9, v10
	v_lshrrev_b32_e32 v10, 4, v0
	ds_write_b32 v10, v9
.LBB1_6:
	s_or_b64 exec, exec, s[2:3]
	v_cmp_gt_u32_e64 s[2:3], 64, v0
	s_waitcnt lgkmcnt(0)
	s_barrier
	s_and_saveexec_b64 s[16:17], s[2:3]
	s_cbranch_execz .LBB1_11
; %bb.7:
	s_add_i32 s2, s20, 63
	s_lshr_b32 s2, s2, 6
	v_cmp_gt_u32_e64 s[2:3], s2, v8
	v_mov_b32_e32 v9, 0
	s_and_saveexec_b64 s[18:19], s[2:3]
	s_cbranch_execz .LBB1_9
; %bb.8:
	v_lshlrev_b32_e32 v8, 2, v8
	ds_read_b32 v9, v8
.LBB1_9:
	s_or_b64 exec, exec, s[18:19]
	s_waitcnt lgkmcnt(0)
	ds_bpermute_b32 v2, v2, v9
	s_waitcnt lgkmcnt(0)
	v_add_f32_e32 v2, v9, v2
	ds_bpermute_b32 v3, v3, v2
	s_waitcnt lgkmcnt(0)
	v_add_f32_e32 v2, v2, v3
	;; [unrolled: 3-line block ×5, first 2 shown]
	ds_bpermute_b32 v3, v7, v2
	s_and_b64 exec, exec, s[0:1]
	s_cbranch_execz .LBB1_11
; %bb.10:
	s_waitcnt lgkmcnt(0)
	v_add_f32_e32 v2, v2, v3
	v_mov_b32_e32 v3, 0
	ds_write_b32 v3, v2
.LBB1_11:
	s_or_b64 exec, exec, s[16:17]
	s_waitcnt lgkmcnt(0)
	s_barrier
	s_and_saveexec_b64 s[0:1], vcc
	s_cbranch_execz .LBB1_23
; %bb.12:
	v_add_co_u32_e32 v6, vcc, s20, v0
	v_addc_co_u32_e64 v7, s[0:1], 0, 0, vcc
	v_mov_b32_e32 v2, s15
	v_cmp_gt_i64_e32 vcc, s[14:15], v[6:7]
	v_cndmask_b32_e32 v5, v7, v2, vcc
	v_mov_b32_e32 v2, s14
	v_mov_b32_e32 v4, 0
	v_cndmask_b32_e32 v8, v6, v2, vcc
	v_cndmask_b32_e64 v2, 0, 1, vcc
	ds_read_b32 v3, v4
	v_add_co_u32_e32 v6, vcc, v6, v2
	v_addc_co_u32_e32 v7, vcc, 0, v7, vcc
	v_sub_co_u32_e32 v8, vcc, v8, v6
	v_subb_co_u32_e32 v5, vcc, v5, v7, vcc
	s_mov_b32 s16, 0
	v_cmp_ne_u64_e32 vcc, 0, v[4:5]
                                        ; implicit-def: $vgpr6_vgpr7
	s_and_saveexec_b64 s[0:1], vcc
	s_xor_b64 s[2:3], exec, s[0:1]
	s_cbranch_execz .LBB1_14
; %bb.13:
	v_cvt_f32_u32_e32 v4, s20
	v_mov_b32_e32 v6, 0x4f800000
	s_sub_u32 s0, 0, s20
	s_subb_u32 s1, 0, 0
	v_mac_f32_e32 v4, 0, v6
	v_rcp_f32_e32 v4, v4
	v_mul_f32_e32 v4, 0x5f7ffffc, v4
	v_mul_f32_e32 v6, 0x2f800000, v4
	v_trunc_f32_e32 v6, v6
	v_madmk_f32 v4, v6, 0xcf800000, v4
	v_cvt_u32_f32_e32 v6, v6
	v_cvt_u32_f32_e32 v4, v4
	v_mul_lo_u32 v7, s0, v6
	v_mul_hi_u32 v10, s0, v4
	v_mul_lo_u32 v9, s1, v4
	v_add_u32_e32 v7, v10, v7
	v_mul_lo_u32 v11, s0, v4
	v_add_u32_e32 v7, v7, v9
	v_mul_hi_u32 v10, v4, v11
	v_mul_lo_u32 v12, v4, v7
	v_mul_hi_u32 v9, v4, v7
	v_add_co_u32_e32 v10, vcc, v10, v12
	v_addc_co_u32_e32 v9, vcc, 0, v9, vcc
	v_mul_hi_u32 v13, v6, v11
	v_mul_lo_u32 v11, v6, v11
	v_add_co_u32_e32 v10, vcc, v10, v11
	v_mul_hi_u32 v12, v6, v7
	v_addc_co_u32_e32 v9, vcc, v9, v13, vcc
	v_addc_co_u32_e32 v10, vcc, 0, v12, vcc
	v_mul_lo_u32 v7, v6, v7
	v_add_co_u32_e32 v7, vcc, v9, v7
	v_addc_co_u32_e32 v9, vcc, 0, v10, vcc
	v_add_co_u32_e32 v4, vcc, v4, v7
	v_addc_co_u32_e32 v6, vcc, v6, v9, vcc
	v_mul_lo_u32 v7, s0, v6
	v_mul_hi_u32 v9, s0, v4
	v_add_u32_e32 v7, v9, v7
	v_mul_lo_u32 v9, s1, v4
	v_add_u32_e32 v7, v7, v9
	v_mul_lo_u32 v10, s0, v4
	v_mul_hi_u32 v11, v6, v10
	v_mul_lo_u32 v12, v6, v10
	v_mul_lo_u32 v14, v4, v7
	v_mul_hi_u32 v10, v4, v10
	v_mul_hi_u32 v13, v4, v7
	v_add_co_u32_e32 v10, vcc, v10, v14
	v_addc_co_u32_e32 v13, vcc, 0, v13, vcc
	v_add_co_u32_e32 v10, vcc, v10, v12
	v_mul_hi_u32 v9, v6, v7
	v_addc_co_u32_e32 v10, vcc, v13, v11, vcc
	v_addc_co_u32_e32 v9, vcc, 0, v9, vcc
	v_mul_lo_u32 v7, v6, v7
	v_add_co_u32_e32 v7, vcc, v10, v7
	v_addc_co_u32_e32 v9, vcc, 0, v9, vcc
	v_add_co_u32_e32 v4, vcc, v4, v7
	v_addc_co_u32_e32 v9, vcc, v6, v9, vcc
	v_mad_u64_u32 v[6:7], s[0:1], v8, v9, 0
	v_mul_hi_u32 v10, v8, v4
	v_add_co_u32_e32 v12, vcc, v10, v6
	v_addc_co_u32_e32 v13, vcc, 0, v7, vcc
	v_mad_u64_u32 v[10:11], s[0:1], v5, v4, 0
	v_add_co_u32_e32 v4, vcc, v12, v10
	v_mad_u64_u32 v[6:7], s[0:1], v5, v9, 0
	v_addc_co_u32_e32 v4, vcc, v13, v11, vcc
	v_addc_co_u32_e32 v7, vcc, 0, v7, vcc
	v_add_co_u32_e32 v9, vcc, v4, v6
	v_addc_co_u32_e32 v12, vcc, 0, v7, vcc
	v_mad_u64_u32 v[6:7], s[0:1], s20, v9, 0
	v_mov_b32_e32 v4, v7
	v_mad_u64_u32 v[10:11], s[0:1], s20, v12, v[4:5]
	v_sub_co_u32_e32 v4, vcc, v8, v6
	v_subb_co_u32_e32 v5, vcc, v5, v10, vcc
	v_subrev_co_u32_e32 v6, vcc, s20, v4
	v_subbrev_co_u32_e32 v7, vcc, 0, v5, vcc
	v_cmp_le_u32_e32 vcc, s20, v6
	v_cndmask_b32_e64 v6, 0, -1, vcc
	v_cmp_eq_u32_e32 vcc, 0, v7
	v_cndmask_b32_e32 v6, -1, v6, vcc
	v_add_co_u32_e32 v8, vcc, 2, v9
	v_addc_co_u32_e32 v7, vcc, 0, v12, vcc
	v_add_co_u32_e32 v10, vcc, 1, v9
	v_cmp_le_u32_e64 s[0:1], s20, v4
	v_addc_co_u32_e32 v11, vcc, 0, v12, vcc
	v_cndmask_b32_e64 v4, 0, -1, s[0:1]
	v_cmp_eq_u32_e64 s[0:1], 0, v5
	v_cmp_ne_u32_e32 vcc, 0, v6
	v_cndmask_b32_e64 v4, -1, v4, s[0:1]
	v_cndmask_b32_e32 v6, v11, v7, vcc
	v_cmp_ne_u32_e64 s[0:1], 0, v4
	v_cndmask_b32_e32 v4, v10, v8, vcc
	v_cndmask_b32_e64 v7, v12, v6, s[0:1]
	v_cndmask_b32_e64 v6, v9, v4, s[0:1]
                                        ; implicit-def: $vgpr8
.LBB1_14:
	s_andn2_saveexec_b64 s[0:1], s[2:3]
	s_cbranch_execz .LBB1_16
; %bb.15:
	v_cvt_f32_u32_e32 v4, s20
	s_sub_i32 s2, 0, s20
	v_rcp_iflag_f32_e32 v4, v4
	v_mul_f32_e32 v4, 0x4f7ffffe, v4
	v_cvt_u32_f32_e32 v4, v4
	v_mul_lo_u32 v5, s2, v4
	v_mul_hi_u32 v5, v4, v5
	v_add_u32_e32 v4, v4, v5
	v_mul_hi_u32 v4, v8, v4
	v_mul_lo_u32 v5, v4, s20
	v_sub_u32_e32 v5, v8, v5
	v_add_u32_e32 v6, 1, v4
	v_subrev_u32_e32 v7, s20, v5
	v_cmp_le_u32_e32 vcc, s20, v5
	v_cndmask_b32_e32 v5, v5, v7, vcc
	v_cndmask_b32_e32 v4, v4, v6, vcc
	v_add_u32_e32 v6, 1, v4
	v_cmp_le_u32_e32 vcc, s20, v5
	v_cndmask_b32_e32 v6, v4, v6, vcc
	v_mov_b32_e32 v7, 0
.LBB1_16:
	s_or_b64 exec, exec, s[0:1]
	s_xor_b32 s1, s14, s15
	s_flbit_i32 s0, s15
	s_ashr_i32 s1, s1, 31
	s_add_i32 s0, s0, -1
	s_add_i32 s1, s1, 32
	s_min_u32 s2, s0, s1
	s_lshl_b64 s[0:1], s[14:15], s2
	s_min_u32 s0, s0, 1
	s_or_b32 s0, s1, s0
	v_cvt_f32_i32_e32 v4, s0
	s_sub_i32 s0, 32, s2
	v_ldexp_f32 v4, v4, s0
	s_waitcnt lgkmcnt(0)
	v_div_scale_f32 v5, s[0:1], v4, v4, v3
	v_rcp_f32_e32 v8, v5
	s_load_dword s0, s[4:5], 0x20
	s_mov_b64 s[4:5], -1
	v_fma_f32 v9, -v5, v8, 1.0
	v_fmac_f32_e32 v8, v9, v8
	v_div_scale_f32 v9, vcc, v3, v4, v3
	v_mul_f32_e32 v10, v9, v8
	v_fma_f32 v11, -v5, v10, v9
	v_fmac_f32_e32 v10, v11, v8
	v_fma_f32 v5, -v5, v10, v9
	v_div_fmas_f32 v5, v5, v8, v10
	v_div_fixup_f32 v3, v5, v4, v3
	s_waitcnt lgkmcnt(0)
	v_add_f32_e32 v3, s0, v3
	s_mov_b32 s0, 0x800000
	v_mul_f32_e32 v4, 0x4b800000, v3
	v_cmp_gt_f32_e32 vcc, s0, v3
	v_cndmask_b32_e32 v3, v3, v4, vcc
	v_rsq_f32_e32 v3, v3
	s_lshl_b64 s[0:1], s[6:7], 2
	s_add_u32 s6, s8, s0
	s_addc_u32 s7, s9, s1
	v_mul_f32_e32 v4, 0x45800000, v3
	v_cndmask_b32_e32 v4, v3, v4, vcc
	v_add_co_u32_e32 v2, vcc, v6, v2
	v_addc_co_u32_e32 v3, vcc, 0, v7, vcc
	v_add_co_u32_e32 v2, vcc, 1, v2
	v_addc_co_u32_e32 v3, vcc, 0, v3, vcc
	s_cmp_eq_u32 s20, 1
	v_cmp_lt_u64_e32 vcc, 3, v[2:3]
	s_cselect_b64 s[2:3], -1, 0
	s_and_b64 s[8:9], vcc, s[2:3]
	s_and_saveexec_b64 s[2:3], s[8:9]
	s_cbranch_execz .LBB1_20
; %bb.17:
	s_lshl_b32 s8, s20, 4
	s_add_u32 s9, s10, 8
	s_addc_u32 s19, s11, 0
	s_add_u32 s4, s0, s12
	s_addc_u32 s5, s1, s13
	s_add_u32 s17, s4, 8
	v_and_b32_e32 v6, -4, v2
	v_mov_b32_e32 v7, v3
	s_mov_b32 s18, 0
	s_addc_u32 s21, s5, 0
	v_mov_b32_e32 v5, v4
	v_lshlrev_b32_e32 v8, 2, v0
	v_mov_b32_e32 v9, 0
	s_mov_b64 s[4:5], 0
	v_mov_b32_e32 v12, s7
	v_mov_b32_e32 v13, s19
	v_mov_b32_e32 v14, s21
	v_mov_b32_e32 v15, s18
	v_pk_mov_b32 v[10:11], v[6:7], v[6:7] op_sel:[0,1]
.LBB1_18:                               ; =>This Inner Loop Header: Depth=1
	v_add_co_u32_e32 v24, vcc, s6, v8
	v_addc_co_u32_e32 v25, vcc, v12, v9, vcc
	v_add_co_u32_e32 v26, vcc, s9, v8
	v_addc_co_u32_e32 v27, vcc, v13, v9, vcc
	global_load_dwordx4 v[16:19], v[24:25], off
	global_load_dwordx4 v[20:23], v[26:27], off offset:-8
	v_add_co_u32_e32 v24, vcc, s17, v8
	v_addc_co_u32_e32 v25, vcc, v14, v9, vcc
	v_add_co_u32_e32 v10, vcc, -4, v10
	v_addc_co_u32_e32 v11, vcc, -1, v11, vcc
	v_add_co_u32_e32 v8, vcc, s8, v8
	v_addc_co_u32_e32 v9, vcc, v9, v15, vcc
	v_cmp_eq_u64_e32 vcc, 0, v[10:11]
	s_or_b64 s[4:5], vcc, s[4:5]
	s_waitcnt vmcnt(1)
	v_pk_mul_f32 v[16:17], v[4:5], v[16:17]
	v_pk_mul_f32 v[18:19], v[4:5], v[18:19]
	s_waitcnt vmcnt(0)
	v_pk_mul_f32 v[16:17], v[16:17], v[20:21]
	v_pk_mul_f32 v[18:19], v[18:19], v[22:23]
	global_store_dwordx4 v[24:25], v[16:19], off offset:-8
	s_andn2_b64 exec, exec, s[4:5]
	s_cbranch_execnz .LBB1_18
; %bb.19:
	s_or_b64 exec, exec, s[4:5]
	v_mad_u64_u32 v[0:1], s[4:5], v6, s20, v[0:1]
	v_mov_b32_e32 v8, v1
	v_mad_u64_u32 v[8:9], s[4:5], v7, s20, v[8:9]
	v_cmp_ne_u64_e32 vcc, v[2:3], v[6:7]
	v_mov_b32_e32 v1, v8
	s_orn2_b64 s[4:5], vcc, exec
                                        ; kill: def $vgpr5 killed $sgpr0 killed $exec
.LBB1_20:
	s_or_b64 exec, exec, s[2:3]
	s_and_b64 exec, exec, s[4:5]
	s_cbranch_execz .LBB1_23
; %bb.21:
	s_add_u32 s2, s12, s0
	s_addc_u32 s4, s13, s1
	s_mov_b32 s5, 0
	v_lshlrev_b64 v[2:3], 2, v[0:1]
	s_lshl_b32 s3, s20, 2
	s_mov_b64 s[0:1], 0
	v_mov_b32_e32 v5, s7
	v_mov_b32_e32 v6, s11
	v_mov_b32_e32 v7, s4
	v_mov_b32_e32 v8, s16
	v_mov_b32_e32 v9, s5
.LBB1_22:                               ; =>This Inner Loop Header: Depth=1
	v_add_co_u32_e32 v10, vcc, s6, v2
	v_addc_co_u32_e32 v11, vcc, v5, v3, vcc
	v_add_co_u32_e32 v12, vcc, s10, v2
	v_addc_co_u32_e32 v13, vcc, v6, v3, vcc
	global_load_dword v14, v[10:11], off
	global_load_dword v15, v[12:13], off
	v_add_co_u32_e32 v10, vcc, s2, v2
	v_addc_co_u32_e32 v11, vcc, v7, v3, vcc
	v_add_co_u32_e32 v0, vcc, s20, v0
	v_addc_co_u32_e32 v1, vcc, v1, v8, vcc
	;; [unrolled: 2-line block ×3, first 2 shown]
	v_cmp_le_i64_e32 vcc, s[14:15], v[0:1]
	s_or_b64 s[0:1], vcc, s[0:1]
	s_waitcnt vmcnt(1)
	v_mul_f32_e32 v12, v4, v14
	s_waitcnt vmcnt(0)
	v_mul_f32_e32 v12, v12, v15
	global_store_dword v[10:11], v12, off
	s_andn2_b64 exec, exec, s[0:1]
	s_cbranch_execnz .LBB1_22
.LBB1_23:
	s_endpgm
	.section	.rodata,"a",@progbits
	.p2align	6, 0x0
	.amdhsa_kernel _Z27rmsnorm_fwd_two_scan_kernelIfLi1EEvPKT_S2_PS0_lf
		.amdhsa_group_segment_fixed_size 64
		.amdhsa_private_segment_fixed_size 0
		.amdhsa_kernarg_size 296
		.amdhsa_user_sgpr_count 6
		.amdhsa_user_sgpr_private_segment_buffer 1
		.amdhsa_user_sgpr_dispatch_ptr 0
		.amdhsa_user_sgpr_queue_ptr 0
		.amdhsa_user_sgpr_kernarg_segment_ptr 1
		.amdhsa_user_sgpr_dispatch_id 0
		.amdhsa_user_sgpr_flat_scratch_init 0
		.amdhsa_user_sgpr_kernarg_preload_length 0
		.amdhsa_user_sgpr_kernarg_preload_offset 0
		.amdhsa_user_sgpr_private_segment_size 0
		.amdhsa_uses_dynamic_stack 0
		.amdhsa_system_sgpr_private_segment_wavefront_offset 0
		.amdhsa_system_sgpr_workgroup_id_x 1
		.amdhsa_system_sgpr_workgroup_id_y 0
		.amdhsa_system_sgpr_workgroup_id_z 0
		.amdhsa_system_sgpr_workgroup_info 0
		.amdhsa_system_vgpr_workitem_id 0
		.amdhsa_next_free_vgpr 28
		.amdhsa_next_free_sgpr 22
		.amdhsa_accum_offset 28
		.amdhsa_reserve_vcc 1
		.amdhsa_reserve_flat_scratch 0
		.amdhsa_float_round_mode_32 0
		.amdhsa_float_round_mode_16_64 0
		.amdhsa_float_denorm_mode_32 3
		.amdhsa_float_denorm_mode_16_64 3
		.amdhsa_dx10_clamp 1
		.amdhsa_ieee_mode 1
		.amdhsa_fp16_overflow 0
		.amdhsa_tg_split 0
		.amdhsa_exception_fp_ieee_invalid_op 0
		.amdhsa_exception_fp_denorm_src 0
		.amdhsa_exception_fp_ieee_div_zero 0
		.amdhsa_exception_fp_ieee_overflow 0
		.amdhsa_exception_fp_ieee_underflow 0
		.amdhsa_exception_fp_ieee_inexact 0
		.amdhsa_exception_int_div_zero 0
	.end_amdhsa_kernel
	.section	.text._Z27rmsnorm_fwd_two_scan_kernelIfLi1EEvPKT_S2_PS0_lf,"axG",@progbits,_Z27rmsnorm_fwd_two_scan_kernelIfLi1EEvPKT_S2_PS0_lf,comdat
.Lfunc_end1:
	.size	_Z27rmsnorm_fwd_two_scan_kernelIfLi1EEvPKT_S2_PS0_lf, .Lfunc_end1-_Z27rmsnorm_fwd_two_scan_kernelIfLi1EEvPKT_S2_PS0_lf
                                        ; -- End function
	.section	.AMDGPU.csdata,"",@progbits
; Kernel info:
; codeLenInByte = 2096
; NumSgprs: 26
; NumVgprs: 28
; NumAgprs: 0
; TotalNumVgprs: 28
; ScratchSize: 0
; MemoryBound: 0
; FloatMode: 240
; IeeeMode: 1
; LDSByteSize: 64 bytes/workgroup (compile time only)
; SGPRBlocks: 3
; VGPRBlocks: 3
; NumSGPRsForWavesPerEU: 26
; NumVGPRsForWavesPerEU: 28
; AccumOffset: 28
; Occupancy: 8
; WaveLimiterHint : 0
; COMPUTE_PGM_RSRC2:SCRATCH_EN: 0
; COMPUTE_PGM_RSRC2:USER_SGPR: 6
; COMPUTE_PGM_RSRC2:TRAP_HANDLER: 0
; COMPUTE_PGM_RSRC2:TGID_X_EN: 1
; COMPUTE_PGM_RSRC2:TGID_Y_EN: 0
; COMPUTE_PGM_RSRC2:TGID_Z_EN: 0
; COMPUTE_PGM_RSRC2:TIDIG_COMP_CNT: 0
; COMPUTE_PGM_RSRC3_GFX90A:ACCUM_OFFSET: 6
; COMPUTE_PGM_RSRC3_GFX90A:TG_SPLIT: 0
	.text
	.p2alignl 6, 3212836864
	.fill 256, 4, 3212836864
	.type	__hip_cuid_5fb7f4d468026aa4,@object ; @__hip_cuid_5fb7f4d468026aa4
	.section	.bss,"aw",@nobits
	.globl	__hip_cuid_5fb7f4d468026aa4
__hip_cuid_5fb7f4d468026aa4:
	.byte	0                               ; 0x0
	.size	__hip_cuid_5fb7f4d468026aa4, 1

	.ident	"AMD clang version 19.0.0git (https://github.com/RadeonOpenCompute/llvm-project roc-6.4.0 25133 c7fe45cf4b819c5991fe208aaa96edf142730f1d)"
	.section	".note.GNU-stack","",@progbits
	.addrsig
	.addrsig_sym __hip_cuid_5fb7f4d468026aa4
	.amdgpu_metadata
---
amdhsa.kernels:
  - .agpr_count:     0
    .args:
      - .actual_access:  read_only
        .address_space:  global
        .offset:         0
        .size:           8
        .value_kind:     global_buffer
      - .actual_access:  read_only
        .address_space:  global
        .offset:         8
        .size:           8
        .value_kind:     global_buffer
      - .address_space:  global
        .offset:         16
        .size:           8
        .value_kind:     global_buffer
      - .offset:         24
        .size:           8
        .value_kind:     by_value
      - .offset:         32
        .size:           4
        .value_kind:     by_value
      - .offset:         40
        .size:           4
        .value_kind:     hidden_block_count_x
      - .offset:         44
        .size:           4
        .value_kind:     hidden_block_count_y
      - .offset:         48
        .size:           4
        .value_kind:     hidden_block_count_z
      - .offset:         52
        .size:           2
        .value_kind:     hidden_group_size_x
      - .offset:         54
        .size:           2
        .value_kind:     hidden_group_size_y
      - .offset:         56
        .size:           2
        .value_kind:     hidden_group_size_z
      - .offset:         58
        .size:           2
        .value_kind:     hidden_remainder_x
      - .offset:         60
        .size:           2
        .value_kind:     hidden_remainder_y
      - .offset:         62
        .size:           2
        .value_kind:     hidden_remainder_z
      - .offset:         80
        .size:           8
        .value_kind:     hidden_global_offset_x
      - .offset:         88
        .size:           8
        .value_kind:     hidden_global_offset_y
      - .offset:         96
        .size:           8
        .value_kind:     hidden_global_offset_z
      - .offset:         104
        .size:           2
        .value_kind:     hidden_grid_dims
    .group_segment_fixed_size: 64
    .kernarg_segment_align: 8
    .kernarg_segment_size: 296
    .language:       OpenCL C
    .language_version:
      - 2
      - 0
    .max_flat_workgroup_size: 1024
    .name:           _Z27rmsnorm_fwd_two_scan_kernelIfLi4EEvPKT_S2_PS0_lf
    .private_segment_fixed_size: 0
    .sgpr_count:     26
    .sgpr_spill_count: 0
    .symbol:         _Z27rmsnorm_fwd_two_scan_kernelIfLi4EEvPKT_S2_PS0_lf.kd
    .uniform_work_group_size: 1
    .uses_dynamic_stack: false
    .vgpr_count:     24
    .vgpr_spill_count: 0
    .wavefront_size: 64
  - .agpr_count:     0
    .args:
      - .actual_access:  read_only
        .address_space:  global
        .offset:         0
        .size:           8
        .value_kind:     global_buffer
      - .actual_access:  read_only
        .address_space:  global
        .offset:         8
        .size:           8
        .value_kind:     global_buffer
      - .address_space:  global
        .offset:         16
        .size:           8
        .value_kind:     global_buffer
      - .offset:         24
        .size:           8
        .value_kind:     by_value
      - .offset:         32
        .size:           4
        .value_kind:     by_value
      - .offset:         40
        .size:           4
        .value_kind:     hidden_block_count_x
      - .offset:         44
        .size:           4
        .value_kind:     hidden_block_count_y
      - .offset:         48
        .size:           4
        .value_kind:     hidden_block_count_z
      - .offset:         52
        .size:           2
        .value_kind:     hidden_group_size_x
      - .offset:         54
        .size:           2
        .value_kind:     hidden_group_size_y
      - .offset:         56
        .size:           2
        .value_kind:     hidden_group_size_z
      - .offset:         58
        .size:           2
        .value_kind:     hidden_remainder_x
      - .offset:         60
        .size:           2
        .value_kind:     hidden_remainder_y
      - .offset:         62
        .size:           2
        .value_kind:     hidden_remainder_z
      - .offset:         80
        .size:           8
        .value_kind:     hidden_global_offset_x
      - .offset:         88
        .size:           8
        .value_kind:     hidden_global_offset_y
      - .offset:         96
        .size:           8
        .value_kind:     hidden_global_offset_z
      - .offset:         104
        .size:           2
        .value_kind:     hidden_grid_dims
    .group_segment_fixed_size: 64
    .kernarg_segment_align: 8
    .kernarg_segment_size: 296
    .language:       OpenCL C
    .language_version:
      - 2
      - 0
    .max_flat_workgroup_size: 1024
    .name:           _Z27rmsnorm_fwd_two_scan_kernelIfLi1EEvPKT_S2_PS0_lf
    .private_segment_fixed_size: 0
    .sgpr_count:     26
    .sgpr_spill_count: 0
    .symbol:         _Z27rmsnorm_fwd_two_scan_kernelIfLi1EEvPKT_S2_PS0_lf.kd
    .uniform_work_group_size: 1
    .uses_dynamic_stack: false
    .vgpr_count:     28
    .vgpr_spill_count: 0
    .wavefront_size: 64
amdhsa.target:   amdgcn-amd-amdhsa--gfx90a
amdhsa.version:
  - 1
  - 2
...

	.end_amdgpu_metadata
